;; amdgpu-corpus repo=ROCm/rocFFT kind=compiled arch=gfx1030 opt=O3
	.text
	.amdgcn_target "amdgcn-amd-amdhsa--gfx1030"
	.amdhsa_code_object_version 6
	.protected	fft_rtc_back_len1728_factors_3_6_6_16_wgs_108_tpt_108_halfLds_half_op_CI_CI_unitstride_sbrr_C2R_dirReg ; -- Begin function fft_rtc_back_len1728_factors_3_6_6_16_wgs_108_tpt_108_halfLds_half_op_CI_CI_unitstride_sbrr_C2R_dirReg
	.globl	fft_rtc_back_len1728_factors_3_6_6_16_wgs_108_tpt_108_halfLds_half_op_CI_CI_unitstride_sbrr_C2R_dirReg
	.p2align	8
	.type	fft_rtc_back_len1728_factors_3_6_6_16_wgs_108_tpt_108_halfLds_half_op_CI_CI_unitstride_sbrr_C2R_dirReg,@function
fft_rtc_back_len1728_factors_3_6_6_16_wgs_108_tpt_108_halfLds_half_op_CI_CI_unitstride_sbrr_C2R_dirReg: ; @fft_rtc_back_len1728_factors_3_6_6_16_wgs_108_tpt_108_halfLds_half_op_CI_CI_unitstride_sbrr_C2R_dirReg
; %bb.0:
	s_clause 0x2
	s_load_dwordx4 s[12:15], s[4:5], 0x0
	s_load_dwordx4 s[8:11], s[4:5], 0x58
	;; [unrolled: 1-line block ×3, first 2 shown]
	v_mul_u32_u24_e32 v1, 0x25f, v0
	v_mov_b32_e32 v3, 0
	v_mov_b32_e32 v7, 0
	;; [unrolled: 1-line block ×3, first 2 shown]
	v_add_nc_u32_sdwa v9, s6, v1 dst_sel:DWORD dst_unused:UNUSED_PAD src0_sel:DWORD src1_sel:WORD_1
	v_mov_b32_e32 v10, v3
	s_waitcnt lgkmcnt(0)
	v_cmp_lt_u64_e64 s0, s[14:15], 2
	s_and_b32 vcc_lo, exec_lo, s0
	s_cbranch_vccnz .LBB0_8
; %bb.1:
	s_load_dwordx2 s[0:1], s[4:5], 0x10
	v_mov_b32_e32 v7, 0
	v_mov_b32_e32 v8, 0
	s_add_u32 s2, s18, 8
	s_addc_u32 s3, s19, 0
	v_mov_b32_e32 v1, v7
	s_add_u32 s6, s16, 8
	v_mov_b32_e32 v2, v8
	s_addc_u32 s7, s17, 0
	s_mov_b64 s[22:23], 1
	s_waitcnt lgkmcnt(0)
	s_add_u32 s20, s0, 8
	s_addc_u32 s21, s1, 0
.LBB0_2:                                ; =>This Inner Loop Header: Depth=1
	s_load_dwordx2 s[24:25], s[20:21], 0x0
                                        ; implicit-def: $vgpr5_vgpr6
	s_mov_b32 s0, exec_lo
	s_waitcnt lgkmcnt(0)
	v_or_b32_e32 v4, s25, v10
	v_cmpx_ne_u64_e32 0, v[3:4]
	s_xor_b32 s1, exec_lo, s0
	s_cbranch_execz .LBB0_4
; %bb.3:                                ;   in Loop: Header=BB0_2 Depth=1
	v_cvt_f32_u32_e32 v4, s24
	v_cvt_f32_u32_e32 v5, s25
	s_sub_u32 s0, 0, s24
	s_subb_u32 s26, 0, s25
	v_fmac_f32_e32 v4, 0x4f800000, v5
	v_rcp_f32_e32 v4, v4
	v_mul_f32_e32 v4, 0x5f7ffffc, v4
	v_mul_f32_e32 v5, 0x2f800000, v4
	v_trunc_f32_e32 v5, v5
	v_fmac_f32_e32 v4, 0xcf800000, v5
	v_cvt_u32_f32_e32 v5, v5
	v_cvt_u32_f32_e32 v4, v4
	v_mul_lo_u32 v6, s0, v5
	v_mul_hi_u32 v11, s0, v4
	v_mul_lo_u32 v12, s26, v4
	v_add_nc_u32_e32 v6, v11, v6
	v_mul_lo_u32 v11, s0, v4
	v_add_nc_u32_e32 v6, v6, v12
	v_mul_hi_u32 v12, v4, v11
	v_mul_lo_u32 v13, v4, v6
	v_mul_hi_u32 v14, v4, v6
	v_mul_hi_u32 v15, v5, v11
	v_mul_lo_u32 v11, v5, v11
	v_mul_hi_u32 v16, v5, v6
	v_mul_lo_u32 v6, v5, v6
	v_add_co_u32 v12, vcc_lo, v12, v13
	v_add_co_ci_u32_e32 v13, vcc_lo, 0, v14, vcc_lo
	v_add_co_u32 v11, vcc_lo, v12, v11
	v_add_co_ci_u32_e32 v11, vcc_lo, v13, v15, vcc_lo
	v_add_co_ci_u32_e32 v12, vcc_lo, 0, v16, vcc_lo
	v_add_co_u32 v6, vcc_lo, v11, v6
	v_add_co_ci_u32_e32 v11, vcc_lo, 0, v12, vcc_lo
	v_add_co_u32 v4, vcc_lo, v4, v6
	v_add_co_ci_u32_e32 v5, vcc_lo, v5, v11, vcc_lo
	v_mul_hi_u32 v6, s0, v4
	v_mul_lo_u32 v12, s26, v4
	v_mul_lo_u32 v11, s0, v5
	v_add_nc_u32_e32 v6, v6, v11
	v_mul_lo_u32 v11, s0, v4
	v_add_nc_u32_e32 v6, v6, v12
	v_mul_hi_u32 v12, v4, v11
	v_mul_lo_u32 v13, v4, v6
	v_mul_hi_u32 v14, v4, v6
	v_mul_hi_u32 v15, v5, v11
	v_mul_lo_u32 v11, v5, v11
	v_mul_hi_u32 v16, v5, v6
	v_mul_lo_u32 v6, v5, v6
	v_add_co_u32 v12, vcc_lo, v12, v13
	v_add_co_ci_u32_e32 v13, vcc_lo, 0, v14, vcc_lo
	v_add_co_u32 v11, vcc_lo, v12, v11
	v_add_co_ci_u32_e32 v11, vcc_lo, v13, v15, vcc_lo
	v_add_co_ci_u32_e32 v12, vcc_lo, 0, v16, vcc_lo
	v_add_co_u32 v6, vcc_lo, v11, v6
	v_add_co_ci_u32_e32 v11, vcc_lo, 0, v12, vcc_lo
	v_add_co_u32 v6, vcc_lo, v4, v6
	v_add_co_ci_u32_e32 v13, vcc_lo, v5, v11, vcc_lo
	v_mul_hi_u32 v15, v9, v6
	v_mad_u64_u32 v[11:12], null, v10, v6, 0
	v_mad_u64_u32 v[4:5], null, v9, v13, 0
	;; [unrolled: 1-line block ×3, first 2 shown]
	v_add_co_u32 v4, vcc_lo, v15, v4
	v_add_co_ci_u32_e32 v5, vcc_lo, 0, v5, vcc_lo
	v_add_co_u32 v4, vcc_lo, v4, v11
	v_add_co_ci_u32_e32 v4, vcc_lo, v5, v12, vcc_lo
	v_add_co_ci_u32_e32 v5, vcc_lo, 0, v14, vcc_lo
	v_add_co_u32 v11, vcc_lo, v4, v13
	v_add_co_ci_u32_e32 v6, vcc_lo, 0, v5, vcc_lo
	v_mul_lo_u32 v12, s25, v11
	v_mad_u64_u32 v[4:5], null, s24, v11, 0
	v_mul_lo_u32 v13, s24, v6
	v_sub_co_u32 v4, vcc_lo, v9, v4
	v_add3_u32 v5, v5, v13, v12
	v_sub_nc_u32_e32 v12, v10, v5
	v_subrev_co_ci_u32_e64 v12, s0, s25, v12, vcc_lo
	v_add_co_u32 v13, s0, v11, 2
	v_add_co_ci_u32_e64 v14, s0, 0, v6, s0
	v_sub_co_u32 v15, s0, v4, s24
	v_sub_co_ci_u32_e32 v5, vcc_lo, v10, v5, vcc_lo
	v_subrev_co_ci_u32_e64 v12, s0, 0, v12, s0
	v_cmp_le_u32_e32 vcc_lo, s24, v15
	v_cmp_eq_u32_e64 s0, s25, v5
	v_cndmask_b32_e64 v15, 0, -1, vcc_lo
	v_cmp_le_u32_e32 vcc_lo, s25, v12
	v_cndmask_b32_e64 v16, 0, -1, vcc_lo
	v_cmp_le_u32_e32 vcc_lo, s24, v4
	;; [unrolled: 2-line block ×3, first 2 shown]
	v_cndmask_b32_e64 v17, 0, -1, vcc_lo
	v_cmp_eq_u32_e32 vcc_lo, s25, v12
	v_cndmask_b32_e64 v4, v17, v4, s0
	v_cndmask_b32_e32 v12, v16, v15, vcc_lo
	v_add_co_u32 v15, vcc_lo, v11, 1
	v_add_co_ci_u32_e32 v16, vcc_lo, 0, v6, vcc_lo
	v_cmp_ne_u32_e32 vcc_lo, 0, v12
	v_cndmask_b32_e32 v5, v16, v14, vcc_lo
	v_cndmask_b32_e32 v12, v15, v13, vcc_lo
	v_cmp_ne_u32_e32 vcc_lo, 0, v4
	v_cndmask_b32_e32 v6, v6, v5, vcc_lo
	v_cndmask_b32_e32 v5, v11, v12, vcc_lo
.LBB0_4:                                ;   in Loop: Header=BB0_2 Depth=1
	s_andn2_saveexec_b32 s0, s1
	s_cbranch_execz .LBB0_6
; %bb.5:                                ;   in Loop: Header=BB0_2 Depth=1
	v_cvt_f32_u32_e32 v4, s24
	s_sub_i32 s1, 0, s24
	v_rcp_iflag_f32_e32 v4, v4
	v_mul_f32_e32 v4, 0x4f7ffffe, v4
	v_cvt_u32_f32_e32 v4, v4
	v_mul_lo_u32 v5, s1, v4
	v_mul_hi_u32 v5, v4, v5
	v_add_nc_u32_e32 v4, v4, v5
	v_mul_hi_u32 v4, v9, v4
	v_mul_lo_u32 v5, v4, s24
	v_add_nc_u32_e32 v6, 1, v4
	v_sub_nc_u32_e32 v5, v9, v5
	v_subrev_nc_u32_e32 v11, s24, v5
	v_cmp_le_u32_e32 vcc_lo, s24, v5
	v_cndmask_b32_e32 v5, v5, v11, vcc_lo
	v_cndmask_b32_e32 v4, v4, v6, vcc_lo
	v_cmp_le_u32_e32 vcc_lo, s24, v5
	v_add_nc_u32_e32 v6, 1, v4
	v_cndmask_b32_e32 v5, v4, v6, vcc_lo
	v_mov_b32_e32 v6, v3
.LBB0_6:                                ;   in Loop: Header=BB0_2 Depth=1
	s_or_b32 exec_lo, exec_lo, s0
	v_mul_lo_u32 v4, v6, s24
	v_mul_lo_u32 v13, v5, s25
	s_load_dwordx2 s[0:1], s[6:7], 0x0
	v_mad_u64_u32 v[11:12], null, v5, s24, 0
	s_load_dwordx2 s[24:25], s[2:3], 0x0
	s_add_u32 s22, s22, 1
	s_addc_u32 s23, s23, 0
	s_add_u32 s2, s2, 8
	s_addc_u32 s3, s3, 0
	s_add_u32 s6, s6, 8
	v_add3_u32 v4, v12, v13, v4
	v_sub_co_u32 v9, vcc_lo, v9, v11
	s_addc_u32 s7, s7, 0
	s_add_u32 s20, s20, 8
	v_sub_co_ci_u32_e32 v4, vcc_lo, v10, v4, vcc_lo
	s_addc_u32 s21, s21, 0
	s_waitcnt lgkmcnt(0)
	v_mul_lo_u32 v10, s0, v4
	v_mul_lo_u32 v11, s1, v9
	v_mad_u64_u32 v[7:8], null, s0, v9, v[7:8]
	v_mul_lo_u32 v4, s24, v4
	v_mul_lo_u32 v12, s25, v9
	v_mad_u64_u32 v[1:2], null, s24, v9, v[1:2]
	v_cmp_ge_u64_e64 s0, s[22:23], s[14:15]
	v_add3_u32 v8, v11, v8, v10
	v_add3_u32 v2, v12, v2, v4
	s_and_b32 vcc_lo, exec_lo, s0
	s_cbranch_vccnz .LBB0_9
; %bb.7:                                ;   in Loop: Header=BB0_2 Depth=1
	v_mov_b32_e32 v10, v6
	v_mov_b32_e32 v9, v5
	s_branch .LBB0_2
.LBB0_8:
	v_mov_b32_e32 v1, v7
	v_mov_b32_e32 v5, v9
	;; [unrolled: 1-line block ×4, first 2 shown]
.LBB0_9:
	s_load_dwordx2 s[0:1], s[4:5], 0x28
	v_mul_hi_u32 v4, 0x25ed098, v0
	s_lshl_b64 s[4:5], s[14:15], 3
                                        ; implicit-def: $vgpr3
	s_add_u32 s2, s18, s4
	s_addc_u32 s3, s19, s5
	s_waitcnt lgkmcnt(0)
	v_cmp_gt_u64_e32 vcc_lo, s[0:1], v[5:6]
	v_cmp_le_u64_e64 s0, s[0:1], v[5:6]
	s_and_saveexec_b32 s1, s0
	s_xor_b32 s0, exec_lo, s1
; %bb.10:
	v_mul_u32_u24_e32 v3, 0x6c, v4
                                        ; implicit-def: $vgpr4
                                        ; implicit-def: $vgpr7_vgpr8
	v_sub_nc_u32_e32 v3, v0, v3
                                        ; implicit-def: $vgpr0
; %bb.11:
	s_or_saveexec_b32 s1, s0
	s_load_dwordx2 s[2:3], s[2:3], 0x0
	s_xor_b32 exec_lo, exec_lo, s1
	s_cbranch_execz .LBB0_15
; %bb.12:
	s_add_u32 s4, s16, s4
	s_addc_u32 s5, s17, s5
	v_lshlrev_b64 v[7:8], 2, v[7:8]
	s_load_dwordx2 s[4:5], s[4:5], 0x0
	s_waitcnt lgkmcnt(0)
	v_mul_lo_u32 v3, s5, v5
	v_mul_lo_u32 v11, s4, v6
	v_mad_u64_u32 v[9:10], null, s4, v5, 0
	s_mov_b32 s4, exec_lo
	v_add3_u32 v10, v10, v11, v3
	v_mul_u32_u24_e32 v3, 0x6c, v4
	v_lshlrev_b64 v[9:10], 2, v[9:10]
	v_sub_nc_u32_e32 v3, v0, v3
	v_lshlrev_b32_e32 v15, 2, v3
	v_add_co_u32 v0, s0, s8, v9
	v_add_co_ci_u32_e64 v4, s0, s9, v10, s0
	v_add_co_u32 v0, s0, v0, v7
	v_add_co_ci_u32_e64 v4, s0, v4, v8, s0
	;; [unrolled: 2-line block ×6, first 2 shown]
	s_clause 0xf
	global_load_dword v16, v[7:8], off
	global_load_dword v17, v[7:8], off offset:432
	global_load_dword v18, v[7:8], off offset:864
	;; [unrolled: 1-line block ×15, first 2 shown]
	v_add_nc_u32_e32 v13, 0, v15
	v_add_nc_u32_e32 v14, 0x200, v13
	v_add_nc_u32_e32 v15, 0x600, v13
	v_add_nc_u32_e32 v26, 0x800, v13
	v_add_nc_u32_e32 v27, 0xc00, v13
	v_add_nc_u32_e32 v28, 0x1000, v13
	v_add_nc_u32_e32 v29, 0x1400, v13
	v_add_nc_u32_e32 v30, 0x1600, v13
	s_waitcnt vmcnt(14)
	ds_write2_b32 v13, v16, v17 offset1:108
	s_waitcnt vmcnt(12)
	ds_write2_b32 v14, v18, v19 offset0:88 offset1:196
	s_waitcnt vmcnt(10)
	ds_write2_b32 v15, v7, v8 offset0:48 offset1:156
	;; [unrolled: 2-line block ×7, first 2 shown]
	v_cmpx_eq_u32_e32 0x6b, v3
	s_cbranch_execz .LBB0_14
; %bb.13:
	v_add_co_u32 v3, s0, 0x1800, v0
	v_add_co_ci_u32_e64 v4, s0, 0, v4, s0
	global_load_dword v0, v[3:4], off offset:768
	v_mov_b32_e32 v4, 0
	v_mov_b32_e32 v3, 0x6b
	s_waitcnt vmcnt(0)
	ds_write_b32 v4, v0 offset:6912
.LBB0_14:
	s_or_b32 exec_lo, exec_lo, s4
.LBB0_15:
	s_or_b32 exec_lo, exec_lo, s1
	v_lshlrev_b32_e32 v4, 2, v3
	s_waitcnt lgkmcnt(0)
	s_barrier
	buffer_gl0_inv
	s_add_u32 s1, s12, 0x1af4
	v_add_nc_u32_e32 v0, 0, v4
	v_sub_nc_u32_e32 v9, 0, v4
	s_addc_u32 s4, s13, 0
	s_mov_b32 s5, exec_lo
                                        ; implicit-def: $vgpr7_vgpr8
	ds_read_u16 v12, v0
	ds_read_u16 v13, v9 offset:6912
	s_waitcnt lgkmcnt(0)
	v_add_f16_e32 v11, v13, v12
	v_sub_f16_e32 v10, v12, v13
	v_cmpx_ne_u32_e32 0, v3
	s_xor_b32 s5, exec_lo, s5
	s_cbranch_execz .LBB0_17
; %bb.16:
	v_mov_b32_e32 v4, 0
	v_add_f16_e32 v11, v13, v12
	v_sub_f16_e32 v12, v12, v13
	v_lshlrev_b64 v[7:8], 2, v[3:4]
	v_add_co_u32 v7, s0, s1, v7
	v_add_co_ci_u32_e64 v8, s0, s4, v8, s0
	global_load_dword v7, v[7:8], off
	ds_read_u16 v8, v9 offset:6914
	ds_read_u16 v10, v0 offset:2
	s_waitcnt lgkmcnt(0)
	v_add_f16_e32 v13, v8, v10
	v_sub_f16_e32 v8, v10, v8
	s_waitcnt vmcnt(0)
	v_lshrrev_b32_e32 v14, 16, v7
	v_fma_f16 v15, -v12, v14, v11
	v_fma_f16 v16, v13, v14, -v8
	v_fma_f16 v10, v13, v14, v8
	v_fma_f16 v11, v12, v14, v11
	v_fmac_f16_e32 v15, v7, v13
	v_fmac_f16_e32 v16, v12, v7
	;; [unrolled: 1-line block ×3, first 2 shown]
	v_fma_f16 v11, -v7, v13, v11
	v_mov_b32_e32 v8, v4
	v_mov_b32_e32 v7, v3
	v_pack_b32_f16 v12, v15, v16
	ds_write_b32 v9, v12 offset:6912
.LBB0_17:
	s_andn2_saveexec_b32 s0, s5
	s_cbranch_execz .LBB0_19
; %bb.18:
	v_mov_b32_e32 v4, 0
	ds_read_b32 v7, v4 offset:3456
	s_waitcnt lgkmcnt(0)
	v_pk_mul_f16 v12, 0xc0004000, v7
	v_mov_b32_e32 v7, 0
	v_mov_b32_e32 v8, 0
	ds_write_b32 v4, v12 offset:3456
.LBB0_19:
	s_or_b32 exec_lo, exec_lo, s0
	v_lshlrev_b64 v[7:8], 2, v[7:8]
	v_add_nc_u32_e32 v25, 0x1400, v0
	v_add_co_u32 v7, s0, s1, v7
	v_add_co_ci_u32_e64 v8, s0, s4, v8, s0
	s_clause 0x3
	global_load_dword v4, v[7:8], off offset:432
	global_load_dword v12, v[7:8], off offset:864
	;; [unrolled: 1-line block ×4, first 2 shown]
	v_add_co_u32 v7, s0, 0x800, v7
	v_add_co_ci_u32_e64 v8, s0, 0, v8, s0
	v_cmp_gt_u32_e64 s0, 36, v3
	s_clause 0x2
	global_load_dword v15, v[7:8], off offset:112
	global_load_dword v16, v[7:8], off offset:544
	;; [unrolled: 1-line block ×3, first 2 shown]
	v_perm_b32 v8, v10, v11, 0x5040100
	ds_write_b32 v0, v8
	ds_read_b32 v8, v0 offset:432
	ds_read_b32 v10, v9 offset:6480
	s_waitcnt lgkmcnt(0)
	v_add_f16_e32 v11, v8, v10
	v_add_f16_sdwa v17, v10, v8 dst_sel:DWORD dst_unused:UNUSED_PAD src0_sel:WORD_1 src1_sel:WORD_1
	v_sub_f16_e32 v18, v8, v10
	v_sub_f16_sdwa v8, v8, v10 dst_sel:DWORD dst_unused:UNUSED_PAD src0_sel:WORD_1 src1_sel:WORD_1
	s_waitcnt vmcnt(6)
	v_lshrrev_b32_e32 v19, 16, v4
	v_fma_f16 v10, v18, v19, v11
	v_fma_f16 v20, v17, v19, v8
	v_fma_f16 v11, -v18, v19, v11
	v_fma_f16 v8, v17, v19, -v8
	v_fma_f16 v10, -v4, v17, v10
	v_fmac_f16_e32 v20, v18, v4
	v_fmac_f16_e32 v11, v4, v17
	v_fmac_f16_e32 v8, v18, v4
	v_pack_b32_f16 v4, v10, v20
	s_waitcnt vmcnt(5)
	v_lshrrev_b32_e32 v10, 16, v12
	v_pack_b32_f16 v8, v11, v8
	ds_write_b32 v0, v4 offset:432
	ds_write_b32 v9, v8 offset:6480
	ds_read_b32 v4, v0 offset:864
	ds_read_b32 v8, v9 offset:6048
	s_waitcnt lgkmcnt(0)
	v_add_f16_e32 v11, v4, v8
	v_add_f16_sdwa v17, v8, v4 dst_sel:DWORD dst_unused:UNUSED_PAD src0_sel:WORD_1 src1_sel:WORD_1
	v_sub_f16_e32 v18, v4, v8
	v_sub_f16_sdwa v4, v4, v8 dst_sel:DWORD dst_unused:UNUSED_PAD src0_sel:WORD_1 src1_sel:WORD_1
	v_fma_f16 v8, v18, v10, v11
	v_fma_f16 v19, v17, v10, v4
	v_fma_f16 v11, -v18, v10, v11
	v_fma_f16 v4, v17, v10, -v4
	s_waitcnt vmcnt(4)
	v_lshrrev_b32_e32 v10, 16, v13
	v_fma_f16 v8, -v12, v17, v8
	v_fmac_f16_e32 v19, v18, v12
	v_fmac_f16_e32 v11, v12, v17
	v_fmac_f16_e32 v4, v18, v12
	v_pack_b32_f16 v8, v8, v19
	v_pack_b32_f16 v4, v11, v4
	ds_write_b32 v0, v8 offset:864
	ds_write_b32 v9, v4 offset:6048
	ds_read_b32 v4, v0 offset:1296
	ds_read_b32 v8, v9 offset:5616
	s_waitcnt lgkmcnt(0)
	v_add_f16_e32 v11, v4, v8
	v_add_f16_sdwa v12, v8, v4 dst_sel:DWORD dst_unused:UNUSED_PAD src0_sel:WORD_1 src1_sel:WORD_1
	v_sub_f16_e32 v17, v4, v8
	v_sub_f16_sdwa v4, v4, v8 dst_sel:DWORD dst_unused:UNUSED_PAD src0_sel:WORD_1 src1_sel:WORD_1
	v_fma_f16 v8, v17, v10, v11
	v_fma_f16 v18, v12, v10, v4
	v_fma_f16 v11, -v17, v10, v11
	v_fma_f16 v4, v12, v10, -v4
	s_waitcnt vmcnt(3)
	v_lshrrev_b32_e32 v10, 16, v14
	v_fma_f16 v8, -v13, v12, v8
	v_fmac_f16_e32 v18, v17, v13
	v_fmac_f16_e32 v11, v13, v12
	v_fmac_f16_e32 v4, v17, v13
	v_pack_b32_f16 v8, v8, v18
	;; [unrolled: 21-line block ×3, first 2 shown]
	v_pack_b32_f16 v4, v11, v4
	ds_write_b32 v0, v8 offset:1728
	ds_write_b32 v9, v4 offset:5184
	ds_read_b32 v4, v0 offset:2160
	ds_read_b32 v8, v9 offset:4752
	s_waitcnt lgkmcnt(0)
	v_add_f16_e32 v11, v4, v8
	v_add_f16_sdwa v12, v8, v4 dst_sel:DWORD dst_unused:UNUSED_PAD src0_sel:WORD_1 src1_sel:WORD_1
	v_sub_f16_e32 v13, v4, v8
	v_sub_f16_sdwa v4, v4, v8 dst_sel:DWORD dst_unused:UNUSED_PAD src0_sel:WORD_1 src1_sel:WORD_1
	v_fma_f16 v8, v13, v10, v11
	v_fma_f16 v14, v12, v10, v4
	v_fma_f16 v11, -v13, v10, v11
	v_fma_f16 v4, v12, v10, -v4
	s_waitcnt vmcnt(1)
	v_lshrrev_b32_e32 v10, 16, v16
	v_fma_f16 v8, -v15, v12, v8
	v_fmac_f16_e32 v14, v13, v15
	v_fmac_f16_e32 v11, v15, v12
	;; [unrolled: 1-line block ×3, first 2 shown]
	v_add_nc_u32_e32 v15, 0x1800, v0
	v_pack_b32_f16 v8, v8, v14
	v_pack_b32_f16 v4, v11, v4
	ds_write_b32 v0, v8 offset:2160
	ds_write_b32 v9, v4 offset:4752
	ds_read_b32 v4, v0 offset:2592
	ds_read_b32 v8, v9 offset:4320
	s_waitcnt lgkmcnt(0)
	v_add_f16_e32 v11, v4, v8
	v_add_f16_sdwa v12, v8, v4 dst_sel:DWORD dst_unused:UNUSED_PAD src0_sel:WORD_1 src1_sel:WORD_1
	v_sub_f16_e32 v13, v4, v8
	v_sub_f16_sdwa v4, v4, v8 dst_sel:DWORD dst_unused:UNUSED_PAD src0_sel:WORD_1 src1_sel:WORD_1
	v_fma_f16 v8, v13, v10, v11
	v_fma_f16 v14, v12, v10, v4
	v_fma_f16 v11, -v13, v10, v11
	v_fma_f16 v4, v12, v10, -v4
	s_waitcnt vmcnt(0)
	v_lshrrev_b32_e32 v10, 16, v7
	v_fma_f16 v8, -v16, v12, v8
	v_fmac_f16_e32 v14, v13, v16
	v_fmac_f16_e32 v11, v16, v12
	;; [unrolled: 1-line block ×3, first 2 shown]
	v_pack_b32_f16 v8, v8, v14
	v_pack_b32_f16 v4, v11, v4
	ds_write_b32 v0, v8 offset:2592
	ds_write_b32 v9, v4 offset:4320
	ds_read_b32 v4, v0 offset:3024
	ds_read_b32 v8, v9 offset:3888
	s_waitcnt lgkmcnt(0)
	v_add_f16_e32 v11, v4, v8
	v_add_f16_sdwa v12, v8, v4 dst_sel:DWORD dst_unused:UNUSED_PAD src0_sel:WORD_1 src1_sel:WORD_1
	v_sub_f16_e32 v13, v4, v8
	v_sub_f16_sdwa v4, v4, v8 dst_sel:DWORD dst_unused:UNUSED_PAD src0_sel:WORD_1 src1_sel:WORD_1
	v_fma_f16 v8, v13, v10, v11
	v_fma_f16 v14, v12, v10, v4
	v_fma_f16 v11, -v13, v10, v11
	v_fma_f16 v4, v12, v10, -v4
	v_add_nc_u32_e32 v10, 0x600, v0
	v_fma_f16 v8, -v7, v12, v8
	v_fmac_f16_e32 v14, v13, v7
	v_fmac_f16_e32 v11, v7, v12
	;; [unrolled: 1-line block ×3, first 2 shown]
	v_add_nc_u32_e32 v13, 0xe00, v0
	v_lshl_add_u32 v7, v3, 3, v0
	v_pack_b32_f16 v8, v8, v14
	v_pack_b32_f16 v11, v11, v4
	v_add_nc_u32_e32 v4, 0x800, v0
	ds_write_b32 v0, v8 offset:3024
	ds_write_b32 v9, v11 offset:3888
	v_add_nc_u32_e32 v9, 0x1000, v0
	v_add_nc_u32_e32 v8, 0x200, v0
	s_waitcnt lgkmcnt(0)
	s_barrier
	buffer_gl0_inv
	s_barrier
	buffer_gl0_inv
	ds_read2_b32 v[11:12], v10 offset0:48 offset1:156
	ds_read2_b32 v[13:14], v13 offset0:112 offset1:220
	;; [unrolled: 1-line block ×3, first 2 shown]
	v_add_nc_u32_e32 v10, 0xc00, v0
	ds_read2_b32 v[17:18], v0 offset1:108
	ds_read2_b32 v[19:20], v4 offset0:64 offset1:172
	ds_read2_b32 v[23:24], v9 offset0:128 offset1:236
	;; [unrolled: 1-line block ×5, first 2 shown]
	v_add_nc_u32_e32 v33, 0x510, v7
	v_add_nc_u32_e32 v8, 0xa20, v7
	;; [unrolled: 1-line block ×4, first 2 shown]
	s_waitcnt lgkmcnt(0)
	s_barrier
	buffer_gl0_inv
	v_pk_add_f16 v25, v11, v13
	v_pk_add_f16 v30, v13, v15
	;; [unrolled: 1-line block ×4, first 2 shown]
	v_pk_add_f16 v14, v14, v16 neg_lo:[0,1] neg_hi:[0,1]
	v_pk_add_f16 v36, v17, v19
	v_pk_add_f16 v37, v19, v23
	v_pk_add_f16 v19, v19, v23 neg_lo:[0,1] neg_hi:[0,1]
	v_pk_add_f16 v38, v18, v20
	v_pk_add_f16 v39, v20, v24
	;; [unrolled: 3-line block ×3, first 2 shown]
	v_pk_add_f16 v21, v21, v28 neg_lo:[0,1] neg_hi:[0,1]
	v_pk_add_f16 v13, v13, v15 neg_lo:[0,1] neg_hi:[0,1]
	v_pk_add_f16 v42, v27, v22
	v_pk_add_f16 v43, v22, v29
	v_pk_add_f16 v44, v22, v29 neg_lo:[0,1] neg_hi:[0,1]
	v_pk_add_f16 v22, v25, v15
	v_pk_fma_f16 v11, v30, 0.5, v11 op_sel_hi:[1,0,1] neg_lo:[1,0,0] neg_hi:[1,0,0]
	v_pk_add_f16 v25, v31, v16
	v_pk_fma_f16 v12, v32, 0.5, v12 op_sel_hi:[1,0,1] neg_lo:[1,0,0] neg_hi:[1,0,0]
	v_pk_mul_f16 v14, 0x3aee, v14 op_sel_hi:[0,1]
	v_pk_fma_f16 v16, v37, 0.5, v17 op_sel_hi:[1,0,1] neg_lo:[1,0,0] neg_hi:[1,0,0]
	v_pk_mul_f16 v17, 0x3aee, v19 op_sel_hi:[0,1]
	;; [unrolled: 2-line block ×3, first 2 shown]
	v_pk_add_f16 v19, v38, v24
	v_pk_fma_f16 v24, v41, 0.5, v26 op_sel_hi:[1,0,1] neg_lo:[1,0,0] neg_hi:[1,0,0]
	v_pk_mul_f16 v21, 0x3aee, v21 op_sel_hi:[0,1]
	v_pk_add_f16 v15, v36, v23
	v_pk_add_f16 v23, v40, v28
	;; [unrolled: 1-line block ×3, first 2 shown]
	v_pk_fma_f16 v29, v43, 0.5, v27 op_sel_hi:[1,0,1] neg_lo:[1,0,0] neg_hi:[1,0,0]
	v_pk_mul_f16 v30, 0x3aee, v44 op_sel_hi:[0,1]
	v_pk_fma_f16 v31, 0x3aee, v13, v11 op_sel:[0,0,1] op_sel_hi:[0,1,0] neg_lo:[0,1,0] neg_hi:[0,1,0]
	v_pk_fma_f16 v32, 0x3aee, v13, v11 op_sel:[0,0,1] op_sel_hi:[0,1,0]
	v_pk_add_f16 v27, v12, v14 op_sel:[0,1] op_sel_hi:[1,0] neg_lo:[0,1] neg_hi:[0,1]
	v_pk_add_f16 v26, v12, v14 op_sel:[0,1] op_sel_hi:[1,0]
	v_pk_add_f16 v11, v16, v17 op_sel:[0,1] op_sel_hi:[1,0] neg_lo:[0,1] neg_hi:[0,1]
	v_pk_add_f16 v12, v16, v17 op_sel:[0,1] op_sel_hi:[1,0]
	;; [unrolled: 2-line block ×5, first 2 shown]
	v_lshrrev_b32_e32 v30, 16, v27
	v_bfi_b32 v21, 0xffff, v11, v12
	v_bfi_b32 v11, 0xffff, v12, v11
	;; [unrolled: 1-line block ×5, first 2 shown]
	ds_write_b32 v7, v22 offset:5184
	v_bfi_b32 v16, 0xffff, v17, v16
	v_bfi_b32 v17, 0xffff, v18, v20
	;; [unrolled: 1-line block ×3, first 2 shown]
	v_alignbit_b32 v20, v31, v32, 16
	v_alignbit_b32 v24, v32, v31, 16
	ds_write2_b32 v7, v15, v21 offset1:1
	ds_write_b32 v7, v11 offset:8
	ds_write2_b32 v33, v19, v12 offset1:1
	ds_write_b32 v7, v13 offset:1304
	ds_write2_b32 v8, v23, v14 offset1:1
	ds_write_b32 v7, v16 offset:2600
	ds_write2_b32 v34, v28, v17 offset1:1
	ds_write_b32 v7, v18 offset:3896
	ds_write2_b32 v35, v24, v20 offset1:1
	s_and_saveexec_b32 s1, s0
	s_cbranch_execz .LBB0_21
; %bb.20:
	v_add_nc_u32_e32 v8, 0x1954, v7
	v_bfi_b32 v11, 0xffff, v27, v26
	v_perm_b32 v12, v30, v26, 0x5040100
	ds_write_b32 v7, v25 offset:6480
	ds_write2_b32 v8, v11, v12 offset1:1
.LBB0_21:
	s_or_b32 exec_lo, exec_lo, s1
	v_add_nc_u32_e32 v11, 0x400, v0
	v_add_nc_u32_e32 v19, 0x1600, v0
	s_waitcnt lgkmcnt(0)
	s_barrier
	buffer_gl0_inv
	ds_read2_b32 v[7:8], v0 offset1:108
	ds_read2_b32 v[13:14], v11 offset0:32 offset1:140
	ds_read2_b32 v[15:16], v4 offset0:64 offset1:172
	;; [unrolled: 1-line block ×5, first 2 shown]
	v_lshrrev_b32_e32 v33, 16, v31
	v_cmp_gt_u32_e64 s0, 0x48, v3
	s_and_saveexec_b32 s1, s0
	s_cbranch_execz .LBB0_23
; %bb.22:
	ds_read_b32 v4, v0 offset:3168
	ds_read_b32 v19, v0 offset:6624
	;; [unrolled: 1-line block ×6, first 2 shown]
	s_waitcnt lgkmcnt(5)
	v_lshrrev_b32_e32 v31, 16, v4
	s_waitcnt lgkmcnt(4)
	v_lshrrev_b32_e32 v30, 16, v19
	s_waitcnt lgkmcnt(3)
	v_alignbit_b32 v32, v4, v33, 16
	s_waitcnt lgkmcnt(2)
	v_bfi_b32 v26, 0xffff, v19, v27
.LBB0_23:
	s_or_b32 exec_lo, exec_lo, s1
	v_add_nc_u32_e32 v4, 0xd8, v3
	v_mov_b32_e32 v19, 0xaaab
	v_and_b32_e32 v21, 0xff, v3
	v_mov_b32_e32 v28, 5
	v_mov_b32_e32 v62, 0x48
	v_lshrrev_b32_e32 v59, 16, v32
	v_mul_u32_u24_sdwa v19, v4, v19 dst_sel:DWORD dst_unused:UNUSED_PAD src0_sel:WORD_0 src1_sel:DWORD
	s_waitcnt lgkmcnt(4)
	v_lshrrev_b32_e32 v56, 16, v13
	s_waitcnt lgkmcnt(3)
	v_lshrrev_b32_e32 v57, 16, v15
	;; [unrolled: 2-line block ×4, first 2 shown]
	v_lshrrev_b32_e32 v23, 17, v19
	v_mul_lo_u16 v19, 0xab, v21
	v_lshrrev_b32_e32 v61, 16, v26
	v_lshrrev_b32_e32 v63, 16, v11
	;; [unrolled: 1-line block ×3, first 2 shown]
	v_mul_lo_u16 v20, v23, 3
	v_lshrrev_b16 v34, 9, v19
	v_lshrrev_b32_e32 v54, 16, v12
	v_lshrrev_b32_e32 v55, 16, v10
	;; [unrolled: 1-line block ×3, first 2 shown]
	v_sub_nc_u16 v24, v4, v20
	v_mul_lo_u16 v19, v34, 3
	v_mul_u32_u24_sdwa v34, v34, v62 dst_sel:DWORD dst_unused:UNUSED_PAD src0_sel:WORD_0 src1_sel:DWORD
	v_lshrrev_b32_e32 v66, 16, v18
	v_lshrrev_b32_e32 v67, 16, v22
	v_mul_u32_u24_sdwa v20, v24, v28 dst_sel:DWORD dst_unused:UNUSED_PAD src0_sel:WORD_0 src1_sel:DWORD
	v_sub_nc_u16 v35, v3, v19
	v_add_nc_u16 v19, v3, 0x6c
	v_lshlrev_b32_e32 v29, 2, v20
	v_mul_u32_u24_sdwa v36, v35, v28 dst_sel:DWORD dst_unused:UNUSED_PAD src0_sel:BYTE_0 src1_sel:DWORD
	v_and_b32_e32 v20, 0xff, v19
	global_load_dwordx4 v[38:41], v29, s[12:13]
	v_lshlrev_b32_e32 v36, 2, v36
	v_mul_lo_u16 v37, 0xab, v20
	global_load_dwordx4 v[42:45], v36, s[12:13]
	v_lshrrev_b16 v50, 9, v37
	s_clause 0x1
	global_load_dword v36, v36, s[12:13] offset:16
	global_load_dword v51, v29, s[12:13] offset:16
	v_lshrrev_b32_e32 v29, 16, v7
	v_mul_lo_u16 v37, v50, 3
	v_mul_u32_u24_sdwa v50, v50, v62 dst_sel:DWORD dst_unused:UNUSED_PAD src0_sel:WORD_0 src1_sel:DWORD
	v_lshrrev_b32_e32 v62, 16, v16
	v_sub_nc_u16 v52, v19, v37
	v_mov_b32_e32 v37, 2
	v_mul_u32_u24_sdwa v28, v52, v28 dst_sel:DWORD dst_unused:UNUSED_PAD src0_sel:BYTE_0 src1_sel:DWORD
	v_lshlrev_b32_sdwa v35, v37, v35 dst_sel:DWORD dst_unused:UNUSED_PAD src0_sel:DWORD src1_sel:BYTE_0
	v_lshlrev_b32_sdwa v52, v37, v52 dst_sel:DWORD dst_unused:UNUSED_PAD src0_sel:DWORD src1_sel:BYTE_0
	v_lshlrev_b32_e32 v28, 2, v28
	v_add3_u32 v68, 0, v34, v35
	s_clause 0x1
	global_load_dwordx4 v[46:49], v28, s[12:13]
	global_load_dword v53, v28, s[12:13] offset:16
	v_add3_u32 v50, 0, v50, v52
	v_lshrrev_b32_e32 v28, 16, v8
	s_waitcnt vmcnt(0)
	s_barrier
	buffer_gl0_inv
	v_mul_f16_sdwa v34, v32, v38 dst_sel:DWORD dst_unused:UNUSED_PAD src0_sel:DWORD src1_sel:WORD_1
	v_mul_f16_sdwa v35, v33, v38 dst_sel:DWORD dst_unused:UNUSED_PAD src0_sel:DWORD src1_sel:WORD_1
	v_mul_f16_sdwa v52, v31, v39 dst_sel:DWORD dst_unused:UNUSED_PAD src0_sel:DWORD src1_sel:WORD_1
	v_mul_f16_sdwa v69, v59, v39 dst_sel:DWORD dst_unused:UNUSED_PAD src0_sel:DWORD src1_sel:WORD_1
	v_mul_f16_sdwa v70, v60, v40 dst_sel:DWORD dst_unused:UNUSED_PAD src0_sel:DWORD src1_sel:WORD_1
	v_mul_f16_sdwa v72, v61, v41 dst_sel:DWORD dst_unused:UNUSED_PAD src0_sel:DWORD src1_sel:WORD_1
	v_mul_f16_sdwa v73, v27, v41 dst_sel:DWORD dst_unused:UNUSED_PAD src0_sel:DWORD src1_sel:WORD_1
	v_mul_f16_sdwa v74, v42, v13 dst_sel:DWORD dst_unused:UNUSED_PAD src0_sel:WORD_1 src1_sel:DWORD
	v_mul_f16_sdwa v75, v42, v56 dst_sel:DWORD dst_unused:UNUSED_PAD src0_sel:WORD_1 src1_sel:DWORD
	;; [unrolled: 1-line block ×6, first 2 shown]
	v_fmac_f16_e32 v34, v33, v38
	v_mul_f16_sdwa v33, v44, v58 dst_sel:DWORD dst_unused:UNUSED_PAD src0_sel:WORD_1 src1_sel:DWORD
	v_fma_f16 v32, v32, v38, -v35
	v_mul_f16_sdwa v35, v45, v63 dst_sel:DWORD dst_unused:UNUSED_PAD src0_sel:WORD_1 src1_sel:DWORD
	v_fmac_f16_e32 v52, v59, v39
	v_mul_f16_sdwa v38, v36, v9 dst_sel:DWORD dst_unused:UNUSED_PAD src0_sel:WORD_1 src1_sel:DWORD
	v_fma_f16 v31, v31, v39, -v69
	v_mul_f16_sdwa v39, v36, v64 dst_sel:DWORD dst_unused:UNUSED_PAD src0_sel:WORD_1 src1_sel:DWORD
	v_mul_f16_sdwa v59, v26, v51 dst_sel:DWORD dst_unused:UNUSED_PAD src0_sel:DWORD src1_sel:WORD_1
	v_mul_f16_sdwa v71, v25, v40 dst_sel:DWORD dst_unused:UNUSED_PAD src0_sel:DWORD src1_sel:WORD_1
	v_fmac_f16_e32 v70, v25, v40
	v_mul_f16_sdwa v25, v30, v51 dst_sel:DWORD dst_unused:UNUSED_PAD src0_sel:DWORD src1_sel:WORD_1
	v_fmac_f16_e32 v72, v27, v41
	v_fma_f16 v27, v61, v41, -v73
	v_fma_f16 v41, v42, v56, -v74
	;; [unrolled: 1-line block ×5, first 2 shown]
	v_fmac_f16_e32 v75, v42, v13
	v_fmac_f16_e32 v77, v43, v15
	;; [unrolled: 1-line block ×4, first 2 shown]
	v_fma_f16 v11, v36, v64, -v38
	v_fmac_f16_e32 v39, v36, v9
	v_mul_f16_sdwa v9, v46, v65 dst_sel:DWORD dst_unused:UNUSED_PAD src0_sel:WORD_1 src1_sel:DWORD
	v_fma_f16 v13, v30, v51, -v59
	v_mul_f16_sdwa v15, v47, v62 dst_sel:DWORD dst_unused:UNUSED_PAD src0_sel:WORD_1 src1_sel:DWORD
	v_mul_f16_sdwa v17, v46, v14 dst_sel:DWORD dst_unused:UNUSED_PAD src0_sel:WORD_1 src1_sel:DWORD
	;; [unrolled: 1-line block ×4, first 2 shown]
	v_mul_f16_sdwa v38, v54, v49 dst_sel:DWORD dst_unused:UNUSED_PAD src0_sel:DWORD src1_sel:WORD_1
	v_mul_f16_sdwa v42, v12, v49 dst_sel:DWORD dst_unused:UNUSED_PAD src0_sel:DWORD src1_sel:WORD_1
	;; [unrolled: 1-line block ×4, first 2 shown]
	v_fmac_f16_e32 v25, v26, v51
	v_mul_f16_sdwa v26, v48, v66 dst_sel:DWORD dst_unused:UNUSED_PAD src0_sel:WORD_1 src1_sel:DWORD
	v_fmac_f16_e32 v9, v46, v14
	v_fmac_f16_e32 v15, v47, v16
	v_fma_f16 v14, v46, v65, -v17
	v_fma_f16 v16, v47, v62, -v30
	;; [unrolled: 1-line block ×3, first 2 shown]
	v_fmac_f16_e32 v38, v12, v49
	v_fma_f16 v12, v54, v49, -v42
	v_fmac_f16_e32 v43, v10, v53
	v_fma_f16 v10, v55, v53, -v44
	v_sub_f16_e32 v36, v56, v58
	v_add_f16_e32 v42, v29, v56
	v_add_f16_e32 v44, v56, v58
	;; [unrolled: 1-line block ×4, first 2 shown]
	v_sub_f16_e32 v55, v31, v27
	v_add_f16_e32 v56, v67, v31
	v_add_f16_e32 v31, v31, v27
	v_fma_f16 v40, v60, v40, -v71
	v_add_f16_e32 v30, v77, v35
	v_add_f16_e32 v51, v57, v11
	v_fmac_f16_e32 v26, v48, v18
	v_add_f16_e32 v18, v7, v77
	v_add_f16_e32 v46, v75, v33
	;; [unrolled: 1-line block ×4, first 2 shown]
	v_fmac_f16_e32 v75, -0.5, v47
	v_add_f16_e32 v47, v53, v72
	v_sub_f16_e32 v53, v17, v10
	v_fmac_f16_e32 v67, -0.5, v31
	v_add_f16_e32 v31, v14, v17
	v_add_f16_e32 v17, v17, v10
	v_sub_f16_e32 v45, v77, v35
	v_sub_f16_e32 v48, v57, v11
	;; [unrolled: 1-line block ×4, first 2 shown]
	v_add_f16_e32 v61, v32, v40
	v_add_f16_e32 v40, v40, v13
	v_fmac_f16_e32 v29, -0.5, v44
	v_fma_f16 v7, -0.5, v30, v7
	v_fmac_f16_e32 v41, -0.5, v51
	v_add_f16_e32 v18, v18, v35
	v_add_f16_e32 v35, v42, v58
	;; [unrolled: 1-line block ×5, first 2 shown]
	v_sub_f16_e32 v44, v16, v12
	v_add_f16_e32 v46, v28, v16
	v_add_f16_e32 v16, v16, v12
	v_fma_f16 v51, -0.5, v54, v22
	v_add_f16_e32 v22, v26, v43
	v_sub_f16_e32 v54, v26, v43
	v_fmac_f16_e32 v14, -0.5, v17
	v_add_f16_e32 v57, v34, v70
	v_add_f16_e32 v59, v70, v25
	v_sub_f16_e32 v62, v70, v25
	v_add_f16_e32 v39, v8, v15
	v_add_f16_e32 v27, v56, v27
	;; [unrolled: 1-line block ×3, first 2 shown]
	v_fmac_f16_e32 v32, -0.5, v40
	v_fmamk_f16 v40, v36, 0xbaee, v7
	v_fmac_f16_e32 v7, 0x3aee, v36
	v_fmamk_f16 v36, v45, 0x3aee, v29
	v_fmac_f16_e32 v29, 0xbaee, v45
	;; [unrolled: 2-line block ×3, first 2 shown]
	v_fmamk_f16 v48, v33, 0x3aee, v41
	v_add_f16_e32 v49, v9, v26
	v_fmac_f16_e32 v41, 0xbaee, v33
	v_sub_f16_e32 v15, v15, v38
	v_add_f16_e32 v33, v18, v30
	v_add_f16_e32 v56, v35, v11
	v_sub_f16_e32 v18, v18, v30
	v_sub_f16_e32 v11, v35, v11
	v_fmac_f16_e32 v8, -0.5, v42
	v_add_f16_e32 v12, v46, v12
	v_fmac_f16_e32 v28, -0.5, v16
	v_fmac_f16_e32 v9, -0.5, v22
	v_fmamk_f16 v46, v54, 0x3aee, v14
	v_add_f16_e32 v26, v57, v25
	v_fmac_f16_e32 v34, -0.5, v59
	v_add_f16_e32 v30, v39, v38
	v_add_f16_e32 v10, v31, v10
	v_fmamk_f16 v38, v62, 0x3aee, v32
	v_add_f16_e32 v25, v27, v13
	v_sub_f16_e32 v27, v27, v13
	v_mul_f16_e32 v13, 0xbaee, v48
	v_mul_f16_e32 v42, 0.5, v48
	v_fmac_f16_e32 v14, 0xbaee, v54
	v_sub_f16_e32 v52, v52, v72
	v_add_f16_e32 v16, v49, v43
	v_fmac_f16_e32 v32, 0xbaee, v62
	v_mul_f16_e32 v39, 0xbaee, v41
	v_mul_f16_e32 v41, -0.5, v41
	v_fmamk_f16 v43, v44, 0xbaee, v8
	v_fmac_f16_e32 v8, 0x3aee, v44
	v_fmamk_f16 v44, v15, 0x3aee, v28
	v_fmac_f16_e32 v28, 0xbaee, v15
	v_fmamk_f16 v15, v53, 0xbaee, v9
	v_pack_b32_f16 v11, v18, v11
	v_mul_f16_e32 v18, 0xbaee, v46
	v_mul_f16_e32 v46, 0.5, v46
	v_fmamk_f16 v31, v60, 0xbaee, v34
	v_fmac_f16_e32 v9, 0x3aee, v53
	v_add_f16_e32 v48, v12, v10
	v_sub_f16_e32 v10, v12, v10
	v_mul_f16_e32 v12, 0xbaee, v38
	v_fmac_f16_e32 v13, 0.5, v45
	v_fmac_f16_e32 v42, 0x3aee, v45
	v_mul_f16_e32 v45, 0xbaee, v14
	v_mul_f16_e32 v14, -0.5, v14
	v_mul_f16_e32 v38, 0.5, v38
	v_fmamk_f16 v35, v52, 0x3aee, v67
	v_fmac_f16_e32 v67, 0xbaee, v52
	v_fmac_f16_e32 v34, 0x3aee, v60
	v_add_f16_e32 v22, v47, v26
	v_sub_f16_e32 v26, v47, v26
	v_add_f16_e32 v47, v30, v16
	v_sub_f16_e32 v16, v30, v16
	v_mul_f16_e32 v49, 0xbaee, v32
	v_mul_f16_e32 v52, -0.5, v32
	v_fmac_f16_e32 v39, -0.5, v75
	v_fmac_f16_e32 v41, 0x3aee, v75
	v_fmac_f16_e32 v18, 0.5, v15
	v_fmac_f16_e32 v46, 0x3aee, v15
	v_fmamk_f16 v17, v55, 0xbaee, v51
	v_fmac_f16_e32 v12, 0.5, v31
	v_fmac_f16_e32 v45, -0.5, v9
	v_fmac_f16_e32 v14, 0x3aee, v9
	v_fmac_f16_e32 v38, 0x3aee, v31
	;; [unrolled: 1-line block ×3, first 2 shown]
	v_fmac_f16_e32 v49, -0.5, v34
	v_fmac_f16_e32 v52, 0x3aee, v34
	v_pack_b32_f16 v47, v47, v48
	v_pack_b32_f16 v10, v16, v10
	v_add_f16_e32 v16, v40, v13
	v_add_f16_e32 v48, v7, v39
	;; [unrolled: 1-line block ×4, first 2 shown]
	v_sub_f16_e32 v13, v40, v13
	v_sub_f16_e32 v7, v7, v39
	;; [unrolled: 1-line block ×4, first 2 shown]
	v_add_f16_e32 v9, v43, v18
	v_add_f16_e32 v15, v44, v46
	;; [unrolled: 1-line block ×3, first 2 shown]
	v_sub_f16_e32 v32, v17, v12
	v_add_f16_e32 v12, v8, v45
	v_add_f16_e32 v17, v28, v14
	;; [unrolled: 1-line block ×3, first 2 shown]
	v_sub_f16_e32 v36, v35, v38
	v_sub_f16_e32 v18, v43, v18
	;; [unrolled: 1-line block ×5, first 2 shown]
	v_pack_b32_f16 v53, v33, v56
	v_add_f16_e32 v30, v51, v49
	v_add_f16_e32 v34, v67, v52
	v_sub_f16_e32 v33, v51, v49
	v_sub_f16_e32 v35, v67, v52
	v_pack_b32_f16 v16, v16, v54
	v_pack_b32_f16 v28, v48, v55
	;; [unrolled: 1-line block ×8, first 2 shown]
	ds_write2_b32 v68, v53, v16 offset1:3
	ds_write2_b32 v68, v28, v11 offset0:6 offset1:9
	ds_write2_b32 v68, v13, v7 offset0:12 offset1:15
	ds_write2_b32 v50, v47, v9 offset1:3
	ds_write2_b32 v50, v12, v10 offset0:6 offset1:9
	ds_write2_b32 v50, v15, v8 offset0:12 offset1:15
	s_and_saveexec_b32 s1, s0
	s_cbranch_execz .LBB0_25
; %bb.24:
	v_mul_lo_u16 v7, v23, 18
	v_lshlrev_b32_sdwa v8, v37, v24 dst_sel:DWORD dst_unused:UNUSED_PAD src0_sel:DWORD src1_sel:WORD_0
	v_perm_b32 v9, v25, v22, 0x5040100
	v_perm_b32 v10, v31, v29, 0x5040100
	;; [unrolled: 1-line block ×3, first 2 shown]
	v_lshlrev_b32_sdwa v7, v37, v7 dst_sel:DWORD dst_unused:UNUSED_PAD src0_sel:DWORD src1_sel:WORD_0
	v_perm_b32 v12, v27, v26, 0x5040100
	v_perm_b32 v13, v35, v33, 0x5040100
	v_add3_u32 v7, 0, v8, v7
	v_perm_b32 v8, v36, v32, 0x5040100
	ds_write2_b32 v7, v9, v10 offset1:3
	ds_write2_b32 v7, v11, v12 offset0:6 offset1:9
	ds_write2_b32 v7, v8, v13 offset0:12 offset1:15
.LBB0_25:
	s_or_b32 exec_lo, exec_lo, s1
	v_add_nc_u32_e32 v9, 0x400, v0
	v_add_nc_u32_e32 v10, 0x800, v0
	;; [unrolled: 1-line block ×5, first 2 shown]
	s_waitcnt lgkmcnt(0)
	s_barrier
	buffer_gl0_inv
	ds_read2_b32 v[7:8], v0 offset1:108
	ds_read2_b32 v[17:18], v9 offset0:32 offset1:140
	ds_read2_b32 v[15:16], v10 offset0:64 offset1:172
	;; [unrolled: 1-line block ×5, first 2 shown]
	s_and_saveexec_b32 s1, s0
	s_cbranch_execz .LBB0_27
; %bb.26:
	ds_read_b32 v22, v0 offset:864
	ds_read_b32 v29, v0 offset:2016
	;; [unrolled: 1-line block ×6, first 2 shown]
	s_waitcnt lgkmcnt(5)
	v_lshrrev_b32_e32 v25, 16, v22
	s_waitcnt lgkmcnt(4)
	v_lshrrev_b32_e32 v31, 16, v29
	;; [unrolled: 2-line block ×6, first 2 shown]
.LBB0_27:
	s_or_b32 exec_lo, exec_lo, s1
	v_mul_lo_u16 v21, v21, 57
	v_mul_lo_u16 v23, v20, 57
	v_mov_b32_e32 v20, 5
	v_mov_b32_e32 v53, 0x1b0
	s_waitcnt lgkmcnt(0)
	v_lshrrev_b32_e32 v56, 16, v9
	v_lshrrev_b16 v21, 10, v21
	v_lshrrev_b16 v23, 10, v23
	v_lshrrev_b32_e32 v50, 16, v10
	v_lshrrev_b32_e32 v55, 16, v11
	;; [unrolled: 1-line block ×3, first 2 shown]
	v_mul_lo_u16 v24, v21, 18
	v_mul_lo_u16 v28, v23, 18
	v_mul_u32_u24_sdwa v23, v23, v53 dst_sel:DWORD dst_unused:UNUSED_PAD src0_sel:WORD_0 src1_sel:DWORD
	v_lshrrev_b32_e32 v51, 16, v17
	v_lshrrev_b32_e32 v52, 16, v15
	v_sub_nc_u16 v24, v3, v24
	v_sub_nc_u16 v28, v19, v28
	v_lshrrev_b32_e32 v54, 16, v13
	v_mul_u32_u24_sdwa v21, v21, v53 dst_sel:DWORD dst_unused:UNUSED_PAD src0_sel:WORD_0 src1_sel:DWORD
	v_lshrrev_b32_e32 v49, 16, v12
	v_mul_u32_u24_sdwa v37, v24, v20 dst_sel:DWORD dst_unused:UNUSED_PAD src0_sel:BYTE_0 src1_sel:DWORD
	v_mul_u32_u24_sdwa v41, v28, v20 dst_sel:DWORD dst_unused:UNUSED_PAD src0_sel:BYTE_0 src1_sel:DWORD
	v_lshrrev_b32_e32 v53, 16, v18
	v_lshrrev_b32_e32 v57, 16, v16
	;; [unrolled: 1-line block ×3, first 2 shown]
	v_lshlrev_b32_e32 v19, 2, v37
	v_lshlrev_b32_e32 v45, 2, v41
	v_lshrrev_b32_e32 v48, 16, v8
	s_clause 0x3
	global_load_dwordx4 v[37:40], v19, s[12:13] offset:60
	global_load_dword v46, v19, s[12:13] offset:76
	global_load_dwordx4 v[41:44], v45, s[12:13] offset:60
	global_load_dword v45, v45, s[12:13] offset:76
	v_mov_b32_e32 v19, 2
	s_waitcnt vmcnt(0)
	s_barrier
	buffer_gl0_inv
	v_lshlrev_b32_sdwa v28, v19, v28 dst_sel:DWORD dst_unused:UNUSED_PAD src0_sel:DWORD src1_sel:BYTE_0
	v_lshlrev_b32_sdwa v24, v19, v24 dst_sel:DWORD dst_unused:UNUSED_PAD src0_sel:DWORD src1_sel:BYTE_0
	v_add3_u32 v23, 0, v23, v28
	v_add3_u32 v21, 0, v21, v24
	v_mul_f16_sdwa v65, v46, v56 dst_sel:DWORD dst_unused:UNUSED_PAD src0_sel:WORD_1 src1_sel:DWORD
	v_mul_f16_sdwa v28, v37, v17 dst_sel:DWORD dst_unused:UNUSED_PAD src0_sel:WORD_1 src1_sel:DWORD
	v_mul_f16_sdwa v60, v38, v15 dst_sel:DWORD dst_unused:UNUSED_PAD src0_sel:WORD_1 src1_sel:DWORD
	v_mul_f16_sdwa v62, v39, v13 dst_sel:DWORD dst_unused:UNUSED_PAD src0_sel:WORD_1 src1_sel:DWORD
	v_mul_f16_sdwa v66, v46, v9 dst_sel:DWORD dst_unused:UNUSED_PAD src0_sel:WORD_1 src1_sel:DWORD
	v_mul_f16_sdwa v63, v40, v55 dst_sel:DWORD dst_unused:UNUSED_PAD src0_sel:WORD_1 src1_sel:DWORD
	v_mul_f16_sdwa v68, v41, v18 dst_sel:DWORD dst_unused:UNUSED_PAD src0_sel:WORD_1 src1_sel:DWORD
	v_mul_f16_sdwa v71, v43, v58 dst_sel:DWORD dst_unused:UNUSED_PAD src0_sel:WORD_1 src1_sel:DWORD
	v_mul_f16_sdwa v72, v43, v14 dst_sel:DWORD dst_unused:UNUSED_PAD src0_sel:WORD_1 src1_sel:DWORD
	v_mul_f16_sdwa v75, v50, v45 dst_sel:DWORD dst_unused:UNUSED_PAD src0_sel:DWORD src1_sel:WORD_1
	v_mul_f16_sdwa v76, v10, v45 dst_sel:DWORD dst_unused:UNUSED_PAD src0_sel:DWORD src1_sel:WORD_1
	v_mul_f16_sdwa v24, v37, v51 dst_sel:DWORD dst_unused:UNUSED_PAD src0_sel:WORD_1 src1_sel:DWORD
	v_mul_f16_sdwa v59, v38, v52 dst_sel:DWORD dst_unused:UNUSED_PAD src0_sel:WORD_1 src1_sel:DWORD
	;; [unrolled: 1-line block ×5, first 2 shown]
	v_fma_f16 v28, v37, v51, -v28
	v_fma_f16 v51, v38, v52, -v60
	;; [unrolled: 1-line block ×3, first 2 shown]
	v_fmac_f16_e32 v65, v46, v9
	v_fma_f16 v9, v46, v56, -v66
	v_mul_f16_sdwa v67, v41, v53 dst_sel:DWORD dst_unused:UNUSED_PAD src0_sel:WORD_1 src1_sel:DWORD
	v_mul_f16_sdwa v69, v42, v57 dst_sel:DWORD dst_unused:UNUSED_PAD src0_sel:WORD_1 src1_sel:DWORD
	v_mul_f16_sdwa v73, v49, v44 dst_sel:DWORD dst_unused:UNUSED_PAD src0_sel:DWORD src1_sel:WORD_1
	v_mul_f16_sdwa v74, v12, v44 dst_sel:DWORD dst_unused:UNUSED_PAD src0_sel:DWORD src1_sel:WORD_1
	v_fmac_f16_e32 v63, v40, v11
	v_fma_f16 v11, v41, v53, -v68
	v_fmac_f16_e32 v71, v43, v14
	v_fma_f16 v14, v43, v58, -v72
	;; [unrolled: 2-line block ×3, first 2 shown]
	v_fma_f16 v54, v40, v55, -v64
	v_fmac_f16_e32 v24, v37, v17
	v_fmac_f16_e32 v59, v38, v15
	v_fmac_f16_e32 v61, v39, v13
	v_fma_f16 v13, v42, v57, -v70
	v_add_f16_e32 v43, v52, v9
	v_fmac_f16_e32 v67, v41, v18
	v_fmac_f16_e32 v69, v42, v16
	v_fmac_f16_e32 v73, v12, v44
	v_fma_f16 v12, v49, v44, -v74
	v_sub_f16_e32 v55, v14, v10
	v_add_f16_e32 v56, v11, v14
	v_add_f16_e32 v14, v14, v10
	;; [unrolled: 1-line block ×8, first 2 shown]
	v_sub_f16_e32 v44, v61, v65
	v_add_f16_e32 v50, v48, v13
	v_fmac_f16_e32 v28, -0.5, v43
	v_sub_f16_e32 v41, v52, v9
	v_add_f16_e32 v45, v8, v69
	v_sub_f16_e32 v49, v13, v12
	v_add_f16_e32 v13, v13, v12
	v_add_f16_e32 v52, v67, v71
	;; [unrolled: 1-line block ×3, first 2 shown]
	v_sub_f16_e32 v57, v71, v75
	v_fmac_f16_e32 v11, -0.5, v14
	v_add_f16_e32 v46, v69, v73
	v_add_f16_e32 v15, v7, v59
	v_sub_f16_e32 v17, v51, v54
	v_sub_f16_e32 v38, v59, v63
	v_fma_f16 v7, -0.5, v16, v7
	v_add_f16_e32 v16, v18, v54
	v_fmac_f16_e32 v47, -0.5, v37
	v_add_f16_e32 v18, v39, v65
	v_fmac_f16_e32 v24, -0.5, v40
	v_add_f16_e32 v12, v50, v12
	v_add_f16_e32 v10, v56, v10
	v_fmamk_f16 v39, v44, 0x3aee, v28
	v_add_f16_e32 v37, v45, v73
	v_fmac_f16_e32 v48, -0.5, v13
	v_add_f16_e32 v13, v52, v75
	v_fmac_f16_e32 v28, 0xbaee, v44
	v_fmac_f16_e32 v67, -0.5, v53
	v_fmamk_f16 v43, v57, 0x3aee, v11
	v_add_f16_e32 v9, v42, v9
	v_fmac_f16_e32 v8, -0.5, v46
	v_fmac_f16_e32 v11, 0xbaee, v57
	v_fmamk_f16 v14, v17, 0xbaee, v7
	v_fmac_f16_e32 v7, 0x3aee, v17
	v_fmamk_f16 v17, v38, 0x3aee, v47
	;; [unrolled: 2-line block ×3, first 2 shown]
	v_add_f16_e32 v45, v12, v10
	v_sub_f16_e32 v10, v12, v10
	v_mul_f16_e32 v12, 0xbaee, v39
	v_mul_f16_e32 v39, 0.5, v39
	v_add_f16_e32 v15, v15, v63
	v_fmac_f16_e32 v24, 0x3aee, v41
	v_add_f16_e32 v44, v37, v13
	v_sub_f16_e32 v13, v37, v13
	v_mul_f16_e32 v37, 0xbaee, v28
	v_mul_f16_e32 v28, -0.5, v28
	v_sub_f16_e32 v51, v69, v73
	v_fmamk_f16 v42, v55, 0xbaee, v67
	v_mul_f16_e32 v46, 0xbaee, v43
	v_mul_f16_e32 v43, 0.5, v43
	v_add_f16_e32 v41, v16, v9
	v_sub_f16_e32 v9, v16, v9
	v_fmamk_f16 v16, v49, 0xbaee, v8
	v_fmac_f16_e32 v8, 0x3aee, v49
	v_fmac_f16_e32 v67, 0x3aee, v55
	v_mul_f16_e32 v49, 0xbaee, v11
	v_mul_f16_e32 v11, -0.5, v11
	v_fmac_f16_e32 v12, 0.5, v38
	v_fmac_f16_e32 v39, 0x3aee, v38
	v_add_f16_e32 v40, v15, v18
	v_fmac_f16_e32 v37, -0.5, v24
	v_fmac_f16_e32 v28, 0x3aee, v24
	v_sub_f16_e32 v15, v15, v18
	v_fmamk_f16 v18, v51, 0x3aee, v48
	v_fmac_f16_e32 v46, 0.5, v42
	v_fmac_f16_e32 v43, 0x3aee, v42
	v_fmac_f16_e32 v48, 0xbaee, v51
	v_fmac_f16_e32 v49, -0.5, v67
	v_fmac_f16_e32 v11, 0x3aee, v67
	v_pack_b32_f16 v10, v13, v10
	v_add_f16_e32 v13, v14, v12
	v_add_f16_e32 v38, v17, v39
	v_pack_b32_f16 v40, v40, v41
	v_add_f16_e32 v24, v7, v37
	v_add_f16_e32 v41, v47, v28
	v_sub_f16_e32 v12, v14, v12
	v_sub_f16_e32 v7, v7, v37
	;; [unrolled: 1-line block ×4, first 2 shown]
	v_add_f16_e32 v28, v16, v46
	v_add_f16_e32 v39, v18, v43
	;; [unrolled: 1-line block ×4, first 2 shown]
	v_sub_f16_e32 v16, v16, v46
	v_sub_f16_e32 v8, v8, v49
	;; [unrolled: 1-line block ×4, first 2 shown]
	v_pack_b32_f16 v13, v13, v38
	v_pack_b32_f16 v9, v15, v9
	;; [unrolled: 1-line block ×10, first 2 shown]
	ds_write2_b32 v21, v40, v13 offset1:18
	ds_write2_b32 v21, v24, v9 offset0:36 offset1:54
	ds_write2_b32 v21, v12, v7 offset0:72 offset1:90
	ds_write2_b32 v23, v15, v14 offset1:18
	ds_write2_b32 v23, v17, v10 offset0:36 offset1:54
	ds_write2_b32 v23, v16, v8 offset0:72 offset1:90
	s_and_saveexec_b32 s1, s0
	s_cbranch_execz .LBB0_29
; %bb.28:
	v_mov_b32_e32 v7, 0xe38f
	v_mul_u32_u24_sdwa v7, v4, v7 dst_sel:DWORD dst_unused:UNUSED_PAD src0_sel:WORD_0 src1_sel:DWORD
	v_lshrrev_b32_e32 v11, 20, v7
	v_mul_lo_u16 v7, v11, 18
	v_mul_lo_u16 v11, 0x6c, v11
	v_sub_nc_u16 v4, v4, v7
	v_lshlrev_b32_sdwa v11, v19, v11 dst_sel:DWORD dst_unused:UNUSED_PAD src0_sel:DWORD src1_sel:WORD_0
	v_mul_u32_u24_sdwa v7, v4, v20 dst_sel:DWORD dst_unused:UNUSED_PAD src0_sel:WORD_0 src1_sel:DWORD
	v_lshlrev_b32_sdwa v4, v19, v4 dst_sel:DWORD dst_unused:UNUSED_PAD src0_sel:DWORD src1_sel:WORD_0
	v_lshlrev_b32_e32 v12, 2, v7
	v_add3_u32 v4, 0, v4, v11
	s_clause 0x1
	global_load_dwordx4 v[7:10], v12, s[12:13] offset:60
	global_load_dword v12, v12, s[12:13] offset:76
	s_waitcnt vmcnt(1)
	v_mul_f16_sdwa v11, v30, v8 dst_sel:DWORD dst_unused:UNUSED_PAD src0_sel:DWORD src1_sel:WORD_1
	v_mul_f16_sdwa v14, v34, v8 dst_sel:DWORD dst_unused:UNUSED_PAD src0_sel:DWORD src1_sel:WORD_1
	;; [unrolled: 1-line block ×4, first 2 shown]
	s_waitcnt vmcnt(0)
	v_mul_f16_sdwa v20, v33, v12 dst_sel:DWORD dst_unused:UNUSED_PAD src0_sel:DWORD src1_sel:WORD_1
	v_mul_f16_sdwa v13, v32, v10 dst_sel:DWORD dst_unused:UNUSED_PAD src0_sel:DWORD src1_sel:WORD_1
	v_mul_f16_sdwa v16, v31, v7 dst_sel:DWORD dst_unused:UNUSED_PAD src0_sel:DWORD src1_sel:WORD_1
	v_mul_f16_sdwa v18, v35, v12 dst_sel:DWORD dst_unused:UNUSED_PAD src0_sel:DWORD src1_sel:WORD_1
	v_mul_f16_sdwa v21, v29, v7 dst_sel:DWORD dst_unused:UNUSED_PAD src0_sel:DWORD src1_sel:WORD_1
	v_fma_f16 v11, v34, v8, -v11
	v_fmac_f16_e32 v14, v30, v8
	v_fmac_f16_e32 v17, v26, v9
	v_fma_f16 v8, v27, v9, -v19
	v_fma_f16 v9, v35, v12, -v20
	v_mul_f16_sdwa v15, v36, v10 dst_sel:DWORD dst_unused:UNUSED_PAD src0_sel:DWORD src1_sel:WORD_1
	v_fma_f16 v13, v36, v10, -v13
	v_fmac_f16_e32 v16, v29, v7
	v_fmac_f16_e32 v18, v33, v12
	v_fma_f16 v7, v31, v7, -v21
	v_add_f16_e32 v21, v8, v9
	v_fmac_f16_e32 v15, v32, v10
	v_add_f16_e32 v10, v11, v13
	v_add_f16_e32 v19, v17, v18
	v_sub_f16_e32 v20, v8, v9
	v_sub_f16_e32 v23, v17, v18
	v_add_f16_e32 v24, v25, v11
	v_add_f16_e32 v8, v7, v8
	v_fma_f16 v7, -0.5, v21, v7
	v_sub_f16_e32 v12, v14, v15
	v_add_f16_e32 v26, v14, v15
	v_add_f16_e32 v14, v22, v14
	;; [unrolled: 1-line block ×3, first 2 shown]
	v_sub_f16_e32 v11, v11, v13
	v_fma_f16 v10, -0.5, v10, v25
	v_fma_f16 v16, -0.5, v19, v16
	v_add_f16_e32 v13, v24, v13
	v_add_f16_e32 v8, v8, v9
	v_fmamk_f16 v19, v23, 0xbaee, v7
	v_fmac_f16_e32 v7, 0x3aee, v23
	v_fma_f16 v9, -0.5, v26, v22
	v_add_f16_e32 v14, v14, v15
	v_add_f16_e32 v15, v17, v18
	v_fmamk_f16 v17, v12, 0xbaee, v10
	v_fmamk_f16 v18, v20, 0x3aee, v16
	v_fmac_f16_e32 v10, 0x3aee, v12
	v_fmac_f16_e32 v16, 0xbaee, v20
	v_sub_f16_e32 v12, v13, v8
	v_add_f16_e32 v8, v13, v8
	v_mul_f16_e32 v13, -0.5, v19
	v_mul_f16_e32 v21, 0.5, v7
	v_mul_f16_e32 v7, 0xbaee, v7
	v_fmamk_f16 v20, v11, 0x3aee, v9
	v_fmac_f16_e32 v9, 0xbaee, v11
	v_sub_f16_e32 v11, v14, v15
	v_add_f16_e32 v14, v14, v15
	v_mul_f16_e32 v15, 0xbaee, v19
	v_fmac_f16_e32 v13, 0x3aee, v18
	v_fmac_f16_e32 v21, 0x3aee, v16
	v_fmac_f16_e32 v7, 0.5, v16
	v_pack_b32_f16 v8, v14, v8
	v_fmac_f16_e32 v15, -0.5, v18
	v_sub_f16_e32 v14, v17, v13
	v_sub_f16_e32 v16, v10, v21
	v_add_f16_e32 v13, v17, v13
	v_add_f16_e32 v10, v10, v21
	;; [unrolled: 1-line block ×4, first 2 shown]
	v_sub_f16_e32 v7, v9, v7
	v_sub_f16_e32 v9, v20, v15
	v_pack_b32_f16 v11, v11, v12
	v_pack_b32_f16 v10, v17, v10
	;; [unrolled: 1-line block ×5, first 2 shown]
	ds_write2_b32 v4, v8, v10 offset1:18
	ds_write2_b32 v4, v12, v11 offset0:36 offset1:54
	ds_write2_b32 v4, v7, v9 offset0:72 offset1:90
.LBB0_29:
	s_or_b32 exec_lo, exec_lo, s1
	v_mul_u32_u24_e32 v4, 15, v3
	s_waitcnt lgkmcnt(0)
	s_barrier
	buffer_gl0_inv
	v_add_nc_u32_e32 v39, 0xc00, v0
	v_lshlrev_b32_e32 v4, 2, v4
	v_add_nc_u32_e32 v40, 0x1000, v0
	v_add_nc_u32_e32 v41, 0x1400, v0
	v_add_nc_u32_e32 v38, 0x800, v0
	v_add_nc_u32_e32 v42, 0x1600, v0
	s_clause 0x3
	global_load_dwordx4 v[7:10], v4, s[12:13] offset:420
	global_load_dwordx4 v[11:14], v4, s[12:13] offset:436
	;; [unrolled: 1-line block ×3, first 2 shown]
	global_load_dwordx3 v[19:21], v4, s[12:13] offset:468
	v_add_nc_u32_e32 v4, 0x600, v0
	v_add_nc_u32_e32 v43, 0x200, v0
	ds_read2_b32 v[22:23], v0 offset1:108
	ds_read2_b32 v[24:25], v4 offset0:48 offset1:156
	ds_read2_b32 v[26:27], v38 offset0:136 offset1:244
	;; [unrolled: 1-line block ×7, first 2 shown]
	s_waitcnt vmcnt(0) lgkmcnt(0)
	s_barrier
	buffer_gl0_inv
	v_lshrrev_b32_e32 v44, 16, v23
	v_lshrrev_b32_e32 v45, 16, v22
	;; [unrolled: 1-line block ×16, first 2 shown]
	v_mul_f16_sdwa v60, v7, v44 dst_sel:DWORD dst_unused:UNUSED_PAD src0_sel:WORD_1 src1_sel:DWORD
	v_mul_f16_sdwa v61, v7, v23 dst_sel:DWORD dst_unused:UNUSED_PAD src0_sel:WORD_1 src1_sel:DWORD
	;; [unrolled: 1-line block ×8, first 2 shown]
	v_mul_f16_sdwa v68, v46, v11 dst_sel:DWORD dst_unused:UNUSED_PAD src0_sel:DWORD src1_sel:WORD_1
	v_mul_f16_sdwa v69, v25, v11 dst_sel:DWORD dst_unused:UNUSED_PAD src0_sel:DWORD src1_sel:WORD_1
	;; [unrolled: 1-line block ×22, first 2 shown]
	v_fmac_f16_e32 v62, v8, v36
	v_fmac_f16_e32 v64, v9, v37
	v_fma_f16 v36, v7, v44, -v61
	v_fma_f16 v8, v8, v57, -v63
	;; [unrolled: 1-line block ×4, first 2 shown]
	v_fmac_f16_e32 v60, v7, v23
	v_fmac_f16_e32 v66, v10, v24
	;; [unrolled: 1-line block ×3, first 2 shown]
	v_fma_f16 v7, v46, v11, -v69
	v_fmac_f16_e32 v70, v26, v12
	v_fma_f16 v10, v47, v12, -v71
	v_fmac_f16_e32 v72, v27, v13
	;; [unrolled: 2-line block ×10, first 2 shown]
	v_fma_f16 v19, v56, v21, -v89
	v_sub_f16_e32 v20, v22, v74
	v_sub_f16_e32 v12, v45, v12
	;; [unrolled: 1-line block ×16, first 2 shown]
	v_fma_f16 v22, v22, 2.0, -v20
	v_fma_f16 v29, v45, 2.0, -v12
	;; [unrolled: 1-line block ×16, first 2 shown]
	v_add_f16_e32 v16, v20, v16
	v_sub_f16_e32 v21, v12, v21
	v_add_f16_e32 v18, v23, v18
	v_sub_f16_e32 v24, v14, v24
	;; [unrolled: 2-line block ×4, first 2 shown]
	v_sub_f16_e32 v30, v22, v30
	v_sub_f16_e32 v31, v29, v31
	v_fma_f16 v20, v20, 2.0, -v16
	v_fma_f16 v12, v12, 2.0, -v21
	v_sub_f16_e32 v33, v32, v33
	v_sub_f16_e32 v10, v8, v10
	v_fma_f16 v23, v23, 2.0, -v18
	v_fma_f16 v14, v14, 2.0, -v24
	;; [unrolled: 4-line block ×4, first 2 shown]
	v_fmamk_f16 v45, v18, 0x39a8, v16
	v_fmamk_f16 v46, v24, 0x39a8, v21
	;; [unrolled: 1-line block ×4, first 2 shown]
	v_fma_f16 v22, v22, 2.0, -v30
	v_fma_f16 v29, v29, 2.0, -v31
	v_fma_f16 v32, v32, 2.0, -v33
	v_fma_f16 v8, v8, 2.0, -v10
	v_fma_f16 v34, v34, 2.0, -v36
	v_fma_f16 v35, v35, 2.0, -v7
	v_fma_f16 v37, v37, 2.0, -v44
	v_fma_f16 v9, v9, 2.0, -v11
	v_fmamk_f16 v49, v23, 0xb9a8, v20
	v_fmamk_f16 v50, v14, 0xb9a8, v12
	v_fmac_f16_e32 v45, 0x39a8, v24
	v_fmac_f16_e32 v46, 0xb9a8, v18
	v_fmamk_f16 v18, v27, 0xb9a8, v25
	v_fmamk_f16 v24, v15, 0xb9a8, v13
	v_add_f16_e32 v10, v30, v10
	v_sub_f16_e32 v33, v31, v33
	v_add_f16_e32 v11, v36, v11
	v_sub_f16_e32 v44, v7, v44
	v_fmac_f16_e32 v47, 0x39a8, v28
	v_fmac_f16_e32 v48, 0xb9a8, v19
	v_sub_f16_e32 v19, v22, v32
	v_sub_f16_e32 v8, v29, v8
	v_fmac_f16_e32 v49, 0x39a8, v14
	v_fmac_f16_e32 v50, 0xb9a8, v23
	v_sub_f16_e32 v28, v34, v37
	v_sub_f16_e32 v9, v35, v9
	v_fmac_f16_e32 v18, 0x39a8, v15
	v_fmac_f16_e32 v24, 0xb9a8, v27
	v_fma_f16 v14, v30, 2.0, -v10
	v_fma_f16 v23, v31, 2.0, -v33
	;; [unrolled: 1-line block ×8, first 2 shown]
	v_fmamk_f16 v27, v11, 0x39a8, v10
	v_fmamk_f16 v30, v44, 0x39a8, v33
	;; [unrolled: 1-line block ×4, first 2 shown]
	v_fma_f16 v22, v22, 2.0, -v19
	v_fma_f16 v29, v29, 2.0, -v8
	;; [unrolled: 1-line block ×8, first 2 shown]
	v_fmamk_f16 v36, v15, 0xb9a8, v14
	v_fmamk_f16 v37, v7, 0xb9a8, v23
	;; [unrolled: 1-line block ×6, first 2 shown]
	v_add_f16_e32 v9, v19, v9
	v_sub_f16_e32 v28, v8, v28
	v_fmac_f16_e32 v27, 0x39a8, v44
	v_fmac_f16_e32 v30, 0xb9a8, v11
	;; [unrolled: 1-line block ×4, first 2 shown]
	v_sub_f16_e32 v11, v22, v34
	v_sub_f16_e32 v34, v29, v35
	v_fmamk_f16 v35, v25, 0xbb64, v20
	v_fmamk_f16 v44, v13, 0xbb64, v12
	v_fmac_f16_e32 v36, 0x39a8, v7
	v_fmac_f16_e32 v37, 0xb9a8, v15
	;; [unrolled: 1-line block ×6, first 2 shown]
	v_fma_f16 v7, v19, 2.0, -v9
	v_fma_f16 v8, v8, 2.0, -v28
	;; [unrolled: 1-line block ×6, first 2 shown]
	v_pack_b32_f16 v19, v27, v30
	v_pack_b32_f16 v24, v31, v32
	v_fmac_f16_e32 v35, 0x361f, v13
	v_fmac_f16_e32 v44, 0xb61f, v25
	v_fma_f16 v13, v14, 2.0, -v36
	v_fma_f16 v14, v23, 2.0, -v37
	v_fma_f16 v16, v16, 2.0, -v51
	v_fma_f16 v21, v21, 2.0, -v52
	v_fma_f16 v23, v49, 2.0, -v53
	v_fma_f16 v25, v50, 2.0, -v54
	v_pack_b32_f16 v7, v7, v8
	v_pack_b32_f16 v8, v10, v15
	v_pack_b32_f16 v10, v17, v18
	v_fma_f16 v22, v22, 2.0, -v11
	v_fma_f16 v26, v29, 2.0, -v34
	ds_write2_b32 v42, v19, v24 offset0:104 offset1:212
	v_fma_f16 v19, v20, 2.0, -v35
	v_fma_f16 v12, v12, 2.0, -v44
	v_pack_b32_f16 v9, v9, v28
	v_pack_b32_f16 v15, v36, v37
	;; [unrolled: 1-line block ×8, first 2 shown]
	ds_write2_b32 v38, v8, v10 offset0:136 offset1:244
	v_pack_b32_f16 v8, v35, v44
	v_pack_b32_f16 v20, v22, v26
	;; [unrolled: 1-line block ×3, first 2 shown]
	ds_write2_b32 v40, v15, v17 offset0:56 offset1:164
	ds_write2_b32 v41, v9, v18 offset0:16 offset1:124
	;; [unrolled: 1-line block ×5, first 2 shown]
	ds_write2_b32 v0, v20, v10 offset1:108
	s_waitcnt lgkmcnt(0)
	s_barrier
	buffer_gl0_inv
	s_and_saveexec_b32 s0, vcc_lo
	s_cbranch_execz .LBB0_31
; %bb.30:
	v_mul_lo_u32 v0, s3, v5
	v_mul_lo_u32 v7, s2, v6
	v_mad_u64_u32 v[5:6], null, s2, v5, 0
	v_lshl_add_u32 v19, v3, 2, 0
	v_mov_b32_e32 v4, 0
	v_add_nc_u32_e32 v9, 0xd8, v3
	v_add_nc_u32_e32 v17, 0x2f4, v3
	ds_read2_b32 v[11:12], v19 offset1:108
	v_add3_u32 v6, v6, v7, v0
	v_lshlrev_b64 v[0:1], 2, v[1:2]
	v_add_nc_u32_e32 v2, 0x200, v19
	v_add_nc_u32_e32 v7, 0x6c, v3
	v_mov_b32_e32 v8, v4
	v_lshlrev_b64 v[5:6], 2, v[5:6]
	v_lshlrev_b64 v[13:14], 2, v[3:4]
	v_mov_b32_e32 v10, v4
	v_mov_b32_e32 v18, v4
	v_add_co_u32 v15, vcc_lo, s10, v5
	v_add_co_ci_u32_e32 v16, vcc_lo, s11, v6, vcc_lo
	ds_read2_b32 v[5:6], v2 offset0:88 offset1:196
	v_add_co_u32 v20, vcc_lo, v15, v0
	v_add_co_ci_u32_e32 v21, vcc_lo, v16, v1, vcc_lo
	v_lshlrev_b64 v[0:1], 2, v[7:8]
	v_add_co_u32 v7, vcc_lo, v20, v13
	v_lshlrev_b64 v[9:10], 2, v[9:10]
	v_add_co_ci_u32_e32 v8, vcc_lo, v21, v14, vcc_lo
	v_add_co_u32 v0, vcc_lo, v20, v0
	v_add_co_ci_u32_e32 v1, vcc_lo, v21, v1, vcc_lo
	v_add_co_u32 v9, vcc_lo, v20, v9
	v_add_co_ci_u32_e32 v10, vcc_lo, v21, v10, vcc_lo
	v_add_nc_u32_e32 v13, 0x144, v3
	v_mov_b32_e32 v14, v4
	v_add_nc_u32_e32 v2, 0x600, v19
	s_waitcnt lgkmcnt(1)
	global_store_dword v[7:8], v11, off
	global_store_dword v[0:1], v12, off
	s_waitcnt lgkmcnt(0)
	global_store_dword v[9:10], v5, off
	v_add_nc_u32_e32 v5, 0x800, v19
	v_add_nc_u32_e32 v7, 0x1b0, v3
	v_mov_b32_e32 v8, v4
	v_lshlrev_b64 v[0:1], 2, v[13:14]
	ds_read2_b32 v[11:12], v2 offset0:48 offset1:156
	v_add_nc_u32_e32 v9, 0x21c, v3
	v_mov_b32_e32 v10, v4
	ds_read2_b32 v[15:16], v5 offset0:136 offset1:244
	v_lshlrev_b64 v[7:8], 2, v[7:8]
	v_add_nc_u32_e32 v13, 0x288, v3
	v_add_co_u32 v0, vcc_lo, v20, v0
	v_lshlrev_b64 v[9:10], 2, v[9:10]
	v_add_co_ci_u32_e32 v1, vcc_lo, v21, v1, vcc_lo
	v_add_co_u32 v7, vcc_lo, v20, v7
	v_lshlrev_b64 v[13:14], 2, v[13:14]
	v_add_co_ci_u32_e32 v8, vcc_lo, v21, v8, vcc_lo
	v_add_co_u32 v9, vcc_lo, v20, v9
	v_add_co_ci_u32_e32 v10, vcc_lo, v21, v10, vcc_lo
	v_add_co_u32 v13, vcc_lo, v20, v13
	v_add_co_ci_u32_e32 v14, vcc_lo, v21, v14, vcc_lo
	v_add_nc_u32_e32 v2, 0xc00, v19
	global_store_dword v[0:1], v6, off
	s_waitcnt lgkmcnt(1)
	global_store_dword v[7:8], v11, off
	global_store_dword v[9:10], v12, off
	s_waitcnt lgkmcnt(0)
	global_store_dword v[13:14], v15, off
	v_add_nc_u32_e32 v12, 0x1000, v19
	v_add_nc_u32_e32 v5, 0x360, v3
	v_mov_b32_e32 v6, v4
	v_lshlrev_b64 v[0:1], 2, v[17:18]
	ds_read2_b32 v[9:10], v2 offset0:96 offset1:204
	v_add_nc_u32_e32 v7, 0x3cc, v3
	v_mov_b32_e32 v8, v4
	ds_read2_b32 v[13:14], v12 offset0:56 offset1:164
	v_lshlrev_b64 v[5:6], 2, v[5:6]
	v_add_nc_u32_e32 v11, 0x438, v3
	v_mov_b32_e32 v12, v4
	v_add_co_u32 v0, vcc_lo, v20, v0
	v_lshlrev_b64 v[7:8], 2, v[7:8]
	v_add_co_ci_u32_e32 v1, vcc_lo, v21, v1, vcc_lo
	v_add_co_u32 v5, vcc_lo, v20, v5
	v_lshlrev_b64 v[11:12], 2, v[11:12]
	v_add_co_ci_u32_e32 v6, vcc_lo, v21, v6, vcc_lo
	v_add_co_u32 v7, vcc_lo, v20, v7
	v_add_co_ci_u32_e32 v8, vcc_lo, v21, v8, vcc_lo
	v_add_co_u32 v11, vcc_lo, v20, v11
	v_add_nc_u32_e32 v2, 0x1400, v19
	v_add_nc_u32_e32 v17, 0x4a4, v3
	v_add_co_ci_u32_e32 v12, vcc_lo, v21, v12, vcc_lo
	global_store_dword v[0:1], v16, off
	s_waitcnt lgkmcnt(1)
	global_store_dword v[5:6], v9, off
	global_store_dword v[7:8], v10, off
	s_waitcnt lgkmcnt(0)
	global_store_dword v[11:12], v13, off
	v_add_nc_u32_e32 v5, 0x510, v3
	v_mov_b32_e32 v6, v4
	ds_read2_b32 v[9:10], v2 offset0:16 offset1:124
	v_add_nc_u32_e32 v2, 0x1600, v19
	v_lshlrev_b64 v[0:1], 2, v[17:18]
	v_add_nc_u32_e32 v7, 0x57c, v3
	v_mov_b32_e32 v8, v4
	v_lshlrev_b64 v[5:6], 2, v[5:6]
	v_add_nc_u32_e32 v11, 0x5e8, v3
	v_mov_b32_e32 v12, v4
	ds_read2_b32 v[15:16], v2 offset0:104 offset1:212
	v_add_co_u32 v0, vcc_lo, v20, v0
	v_lshlrev_b64 v[7:8], 2, v[7:8]
	v_add_nc_u32_e32 v3, 0x654, v3
	v_add_co_ci_u32_e32 v1, vcc_lo, v21, v1, vcc_lo
	v_add_co_u32 v5, vcc_lo, v20, v5
	v_lshlrev_b64 v[11:12], 2, v[11:12]
	v_add_co_ci_u32_e32 v6, vcc_lo, v21, v6, vcc_lo
	v_add_co_u32 v7, vcc_lo, v20, v7
	v_lshlrev_b64 v[2:3], 2, v[3:4]
	v_add_co_ci_u32_e32 v8, vcc_lo, v21, v8, vcc_lo
	v_add_co_u32 v11, vcc_lo, v20, v11
	v_add_co_ci_u32_e32 v12, vcc_lo, v21, v12, vcc_lo
	v_add_co_u32 v2, vcc_lo, v20, v2
	v_add_co_ci_u32_e32 v3, vcc_lo, v21, v3, vcc_lo
	global_store_dword v[0:1], v14, off
	s_waitcnt lgkmcnt(1)
	global_store_dword v[5:6], v9, off
	global_store_dword v[7:8], v10, off
	s_waitcnt lgkmcnt(0)
	global_store_dword v[11:12], v15, off
	global_store_dword v[2:3], v16, off
.LBB0_31:
	s_endpgm
	.section	.rodata,"a",@progbits
	.p2align	6, 0x0
	.amdhsa_kernel fft_rtc_back_len1728_factors_3_6_6_16_wgs_108_tpt_108_halfLds_half_op_CI_CI_unitstride_sbrr_C2R_dirReg
		.amdhsa_group_segment_fixed_size 0
		.amdhsa_private_segment_fixed_size 0
		.amdhsa_kernarg_size 104
		.amdhsa_user_sgpr_count 6
		.amdhsa_user_sgpr_private_segment_buffer 1
		.amdhsa_user_sgpr_dispatch_ptr 0
		.amdhsa_user_sgpr_queue_ptr 0
		.amdhsa_user_sgpr_kernarg_segment_ptr 1
		.amdhsa_user_sgpr_dispatch_id 0
		.amdhsa_user_sgpr_flat_scratch_init 0
		.amdhsa_user_sgpr_private_segment_size 0
		.amdhsa_wavefront_size32 1
		.amdhsa_uses_dynamic_stack 0
		.amdhsa_system_sgpr_private_segment_wavefront_offset 0
		.amdhsa_system_sgpr_workgroup_id_x 1
		.amdhsa_system_sgpr_workgroup_id_y 0
		.amdhsa_system_sgpr_workgroup_id_z 0
		.amdhsa_system_sgpr_workgroup_info 0
		.amdhsa_system_vgpr_workitem_id 0
		.amdhsa_next_free_vgpr 90
		.amdhsa_next_free_sgpr 27
		.amdhsa_reserve_vcc 1
		.amdhsa_reserve_flat_scratch 0
		.amdhsa_float_round_mode_32 0
		.amdhsa_float_round_mode_16_64 0
		.amdhsa_float_denorm_mode_32 3
		.amdhsa_float_denorm_mode_16_64 3
		.amdhsa_dx10_clamp 1
		.amdhsa_ieee_mode 1
		.amdhsa_fp16_overflow 0
		.amdhsa_workgroup_processor_mode 1
		.amdhsa_memory_ordered 1
		.amdhsa_forward_progress 0
		.amdhsa_shared_vgpr_count 0
		.amdhsa_exception_fp_ieee_invalid_op 0
		.amdhsa_exception_fp_denorm_src 0
		.amdhsa_exception_fp_ieee_div_zero 0
		.amdhsa_exception_fp_ieee_overflow 0
		.amdhsa_exception_fp_ieee_underflow 0
		.amdhsa_exception_fp_ieee_inexact 0
		.amdhsa_exception_int_div_zero 0
	.end_amdhsa_kernel
	.text
.Lfunc_end0:
	.size	fft_rtc_back_len1728_factors_3_6_6_16_wgs_108_tpt_108_halfLds_half_op_CI_CI_unitstride_sbrr_C2R_dirReg, .Lfunc_end0-fft_rtc_back_len1728_factors_3_6_6_16_wgs_108_tpt_108_halfLds_half_op_CI_CI_unitstride_sbrr_C2R_dirReg
                                        ; -- End function
	.section	.AMDGPU.csdata,"",@progbits
; Kernel info:
; codeLenInByte = 10776
; NumSgprs: 29
; NumVgprs: 90
; ScratchSize: 0
; MemoryBound: 0
; FloatMode: 240
; IeeeMode: 1
; LDSByteSize: 0 bytes/workgroup (compile time only)
; SGPRBlocks: 3
; VGPRBlocks: 11
; NumSGPRsForWavesPerEU: 29
; NumVGPRsForWavesPerEU: 90
; Occupancy: 10
; WaveLimiterHint : 1
; COMPUTE_PGM_RSRC2:SCRATCH_EN: 0
; COMPUTE_PGM_RSRC2:USER_SGPR: 6
; COMPUTE_PGM_RSRC2:TRAP_HANDLER: 0
; COMPUTE_PGM_RSRC2:TGID_X_EN: 1
; COMPUTE_PGM_RSRC2:TGID_Y_EN: 0
; COMPUTE_PGM_RSRC2:TGID_Z_EN: 0
; COMPUTE_PGM_RSRC2:TIDIG_COMP_CNT: 0
	.text
	.p2alignl 6, 3214868480
	.fill 48, 4, 3214868480
	.type	__hip_cuid_c7f2b28c58d623dc,@object ; @__hip_cuid_c7f2b28c58d623dc
	.section	.bss,"aw",@nobits
	.globl	__hip_cuid_c7f2b28c58d623dc
__hip_cuid_c7f2b28c58d623dc:
	.byte	0                               ; 0x0
	.size	__hip_cuid_c7f2b28c58d623dc, 1

	.ident	"AMD clang version 19.0.0git (https://github.com/RadeonOpenCompute/llvm-project roc-6.4.0 25133 c7fe45cf4b819c5991fe208aaa96edf142730f1d)"
	.section	".note.GNU-stack","",@progbits
	.addrsig
	.addrsig_sym __hip_cuid_c7f2b28c58d623dc
	.amdgpu_metadata
---
amdhsa.kernels:
  - .args:
      - .actual_access:  read_only
        .address_space:  global
        .offset:         0
        .size:           8
        .value_kind:     global_buffer
      - .offset:         8
        .size:           8
        .value_kind:     by_value
      - .actual_access:  read_only
        .address_space:  global
        .offset:         16
        .size:           8
        .value_kind:     global_buffer
      - .actual_access:  read_only
        .address_space:  global
        .offset:         24
        .size:           8
        .value_kind:     global_buffer
      - .actual_access:  read_only
        .address_space:  global
        .offset:         32
        .size:           8
        .value_kind:     global_buffer
      - .offset:         40
        .size:           8
        .value_kind:     by_value
      - .actual_access:  read_only
        .address_space:  global
        .offset:         48
        .size:           8
        .value_kind:     global_buffer
      - .actual_access:  read_only
        .address_space:  global
        .offset:         56
        .size:           8
        .value_kind:     global_buffer
      - .offset:         64
        .size:           4
        .value_kind:     by_value
      - .actual_access:  read_only
        .address_space:  global
        .offset:         72
        .size:           8
        .value_kind:     global_buffer
      - .actual_access:  read_only
        .address_space:  global
        .offset:         80
        .size:           8
        .value_kind:     global_buffer
      - .actual_access:  read_only
        .address_space:  global
        .offset:         88
        .size:           8
        .value_kind:     global_buffer
      - .actual_access:  write_only
        .address_space:  global
        .offset:         96
        .size:           8
        .value_kind:     global_buffer
    .group_segment_fixed_size: 0
    .kernarg_segment_align: 8
    .kernarg_segment_size: 104
    .language:       OpenCL C
    .language_version:
      - 2
      - 0
    .max_flat_workgroup_size: 108
    .name:           fft_rtc_back_len1728_factors_3_6_6_16_wgs_108_tpt_108_halfLds_half_op_CI_CI_unitstride_sbrr_C2R_dirReg
    .private_segment_fixed_size: 0
    .sgpr_count:     29
    .sgpr_spill_count: 0
    .symbol:         fft_rtc_back_len1728_factors_3_6_6_16_wgs_108_tpt_108_halfLds_half_op_CI_CI_unitstride_sbrr_C2R_dirReg.kd
    .uniform_work_group_size: 1
    .uses_dynamic_stack: false
    .vgpr_count:     90
    .vgpr_spill_count: 0
    .wavefront_size: 32
    .workgroup_processor_mode: 1
amdhsa.target:   amdgcn-amd-amdhsa--gfx1030
amdhsa.version:
  - 1
  - 2
...

	.end_amdgpu_metadata
